;; amdgpu-corpus repo=ROCm/rocFFT kind=compiled arch=gfx906 opt=O3
	.text
	.amdgcn_target "amdgcn-amd-amdhsa--gfx906"
	.amdhsa_code_object_version 6
	.protected	fft_rtc_back_len416_factors_13_2_16_wgs_64_tpt_32_sp_ip_CI_unitstride_sbrr_dirReg ; -- Begin function fft_rtc_back_len416_factors_13_2_16_wgs_64_tpt_32_sp_ip_CI_unitstride_sbrr_dirReg
	.globl	fft_rtc_back_len416_factors_13_2_16_wgs_64_tpt_32_sp_ip_CI_unitstride_sbrr_dirReg
	.p2align	8
	.type	fft_rtc_back_len416_factors_13_2_16_wgs_64_tpt_32_sp_ip_CI_unitstride_sbrr_dirReg,@function
fft_rtc_back_len416_factors_13_2_16_wgs_64_tpt_32_sp_ip_CI_unitstride_sbrr_dirReg: ; @fft_rtc_back_len416_factors_13_2_16_wgs_64_tpt_32_sp_ip_CI_unitstride_sbrr_dirReg
; %bb.0:
	s_load_dwordx2 s[2:3], s[4:5], 0x50
	s_load_dwordx4 s[8:11], s[4:5], 0x0
	s_load_dwordx2 s[12:13], s[4:5], 0x18
	v_lshrrev_b32_e32 v1, 5, v0
	v_lshl_or_b32 v5, s6, 1, v1
	v_mov_b32_e32 v3, 0
	s_waitcnt lgkmcnt(0)
	v_cmp_lt_u64_e64 s[0:1], s[10:11], 2
	v_mov_b32_e32 v1, 0
	v_mov_b32_e32 v6, v3
	s_and_b64 vcc, exec, s[0:1]
	v_mov_b32_e32 v2, 0
	s_cbranch_vccnz .LBB0_8
; %bb.1:
	s_load_dwordx2 s[0:1], s[4:5], 0x10
	s_add_u32 s6, s12, 8
	s_addc_u32 s7, s13, 0
	v_mov_b32_e32 v1, 0
	v_mov_b32_e32 v2, 0
	s_waitcnt lgkmcnt(0)
	s_add_u32 s14, s0, 8
	s_addc_u32 s15, s1, 0
	s_mov_b64 s[16:17], 1
.LBB0_2:                                ; =>This Inner Loop Header: Depth=1
	s_load_dwordx2 s[18:19], s[14:15], 0x0
                                        ; implicit-def: $vgpr7_vgpr8
	s_waitcnt lgkmcnt(0)
	v_or_b32_e32 v4, s19, v6
	v_cmp_ne_u64_e32 vcc, 0, v[3:4]
	s_and_saveexec_b64 s[0:1], vcc
	s_xor_b64 s[20:21], exec, s[0:1]
	s_cbranch_execz .LBB0_4
; %bb.3:                                ;   in Loop: Header=BB0_2 Depth=1
	v_cvt_f32_u32_e32 v4, s18
	v_cvt_f32_u32_e32 v7, s19
	s_sub_u32 s0, 0, s18
	s_subb_u32 s1, 0, s19
	v_mac_f32_e32 v4, 0x4f800000, v7
	v_rcp_f32_e32 v4, v4
	v_mul_f32_e32 v4, 0x5f7ffffc, v4
	v_mul_f32_e32 v7, 0x2f800000, v4
	v_trunc_f32_e32 v7, v7
	v_mac_f32_e32 v4, 0xcf800000, v7
	v_cvt_u32_f32_e32 v7, v7
	v_cvt_u32_f32_e32 v4, v4
	v_mul_lo_u32 v8, s0, v7
	v_mul_hi_u32 v9, s0, v4
	v_mul_lo_u32 v11, s1, v4
	v_mul_lo_u32 v10, s0, v4
	v_add_u32_e32 v8, v9, v8
	v_add_u32_e32 v8, v8, v11
	v_mul_hi_u32 v9, v4, v10
	v_mul_lo_u32 v11, v4, v8
	v_mul_hi_u32 v13, v4, v8
	v_mul_hi_u32 v12, v7, v10
	v_mul_lo_u32 v10, v7, v10
	v_mul_hi_u32 v14, v7, v8
	v_add_co_u32_e32 v9, vcc, v9, v11
	v_addc_co_u32_e32 v11, vcc, 0, v13, vcc
	v_mul_lo_u32 v8, v7, v8
	v_add_co_u32_e32 v9, vcc, v9, v10
	v_addc_co_u32_e32 v9, vcc, v11, v12, vcc
	v_addc_co_u32_e32 v10, vcc, 0, v14, vcc
	v_add_co_u32_e32 v8, vcc, v9, v8
	v_addc_co_u32_e32 v9, vcc, 0, v10, vcc
	v_add_co_u32_e32 v4, vcc, v4, v8
	v_addc_co_u32_e32 v7, vcc, v7, v9, vcc
	v_mul_lo_u32 v8, s0, v7
	v_mul_hi_u32 v9, s0, v4
	v_mul_lo_u32 v10, s1, v4
	v_mul_lo_u32 v11, s0, v4
	v_add_u32_e32 v8, v9, v8
	v_add_u32_e32 v8, v8, v10
	v_mul_lo_u32 v12, v4, v8
	v_mul_hi_u32 v13, v4, v11
	v_mul_hi_u32 v14, v4, v8
	;; [unrolled: 1-line block ×3, first 2 shown]
	v_mul_lo_u32 v11, v7, v11
	v_mul_hi_u32 v9, v7, v8
	v_add_co_u32_e32 v12, vcc, v13, v12
	v_addc_co_u32_e32 v13, vcc, 0, v14, vcc
	v_mul_lo_u32 v8, v7, v8
	v_add_co_u32_e32 v11, vcc, v12, v11
	v_addc_co_u32_e32 v10, vcc, v13, v10, vcc
	v_addc_co_u32_e32 v9, vcc, 0, v9, vcc
	v_add_co_u32_e32 v8, vcc, v10, v8
	v_addc_co_u32_e32 v9, vcc, 0, v9, vcc
	v_add_co_u32_e32 v4, vcc, v4, v8
	v_addc_co_u32_e32 v9, vcc, v7, v9, vcc
	v_mad_u64_u32 v[7:8], s[0:1], v5, v9, 0
	v_mul_hi_u32 v10, v5, v4
	v_add_co_u32_e32 v11, vcc, v10, v7
	v_addc_co_u32_e32 v12, vcc, 0, v8, vcc
	v_mad_u64_u32 v[7:8], s[0:1], v6, v4, 0
	v_mad_u64_u32 v[9:10], s[0:1], v6, v9, 0
	v_add_co_u32_e32 v4, vcc, v11, v7
	v_addc_co_u32_e32 v4, vcc, v12, v8, vcc
	v_addc_co_u32_e32 v7, vcc, 0, v10, vcc
	v_add_co_u32_e32 v4, vcc, v4, v9
	v_addc_co_u32_e32 v9, vcc, 0, v7, vcc
	v_mul_lo_u32 v10, s19, v4
	v_mul_lo_u32 v11, s18, v9
	v_mad_u64_u32 v[7:8], s[0:1], s18, v4, 0
	v_add3_u32 v8, v8, v11, v10
	v_sub_u32_e32 v10, v6, v8
	v_mov_b32_e32 v11, s19
	v_sub_co_u32_e32 v7, vcc, v5, v7
	v_subb_co_u32_e64 v10, s[0:1], v10, v11, vcc
	v_subrev_co_u32_e64 v11, s[0:1], s18, v7
	v_subbrev_co_u32_e64 v10, s[0:1], 0, v10, s[0:1]
	v_cmp_le_u32_e64 s[0:1], s19, v10
	v_cndmask_b32_e64 v12, 0, -1, s[0:1]
	v_cmp_le_u32_e64 s[0:1], s18, v11
	v_cndmask_b32_e64 v11, 0, -1, s[0:1]
	v_cmp_eq_u32_e64 s[0:1], s19, v10
	v_cndmask_b32_e64 v10, v12, v11, s[0:1]
	v_add_co_u32_e64 v11, s[0:1], 2, v4
	v_addc_co_u32_e64 v12, s[0:1], 0, v9, s[0:1]
	v_add_co_u32_e64 v13, s[0:1], 1, v4
	v_addc_co_u32_e64 v14, s[0:1], 0, v9, s[0:1]
	v_subb_co_u32_e32 v8, vcc, v6, v8, vcc
	v_cmp_ne_u32_e64 s[0:1], 0, v10
	v_cmp_le_u32_e32 vcc, s19, v8
	v_cndmask_b32_e64 v10, v14, v12, s[0:1]
	v_cndmask_b32_e64 v12, 0, -1, vcc
	v_cmp_le_u32_e32 vcc, s18, v7
	v_cndmask_b32_e64 v7, 0, -1, vcc
	v_cmp_eq_u32_e32 vcc, s19, v8
	v_cndmask_b32_e32 v7, v12, v7, vcc
	v_cmp_ne_u32_e32 vcc, 0, v7
	v_cndmask_b32_e64 v7, v13, v11, s[0:1]
	v_cndmask_b32_e32 v8, v9, v10, vcc
	v_cndmask_b32_e32 v7, v4, v7, vcc
.LBB0_4:                                ;   in Loop: Header=BB0_2 Depth=1
	s_andn2_saveexec_b64 s[0:1], s[20:21]
	s_cbranch_execz .LBB0_6
; %bb.5:                                ;   in Loop: Header=BB0_2 Depth=1
	v_cvt_f32_u32_e32 v4, s18
	s_sub_i32 s20, 0, s18
	v_rcp_iflag_f32_e32 v4, v4
	v_mul_f32_e32 v4, 0x4f7ffffe, v4
	v_cvt_u32_f32_e32 v4, v4
	v_mul_lo_u32 v7, s20, v4
	v_mul_hi_u32 v7, v4, v7
	v_add_u32_e32 v4, v4, v7
	v_mul_hi_u32 v4, v5, v4
	v_mul_lo_u32 v7, v4, s18
	v_add_u32_e32 v8, 1, v4
	v_sub_u32_e32 v7, v5, v7
	v_subrev_u32_e32 v9, s18, v7
	v_cmp_le_u32_e32 vcc, s18, v7
	v_cndmask_b32_e32 v7, v7, v9, vcc
	v_cndmask_b32_e32 v4, v4, v8, vcc
	v_add_u32_e32 v8, 1, v4
	v_cmp_le_u32_e32 vcc, s18, v7
	v_cndmask_b32_e32 v7, v4, v8, vcc
	v_mov_b32_e32 v8, v3
.LBB0_6:                                ;   in Loop: Header=BB0_2 Depth=1
	s_or_b64 exec, exec, s[0:1]
	v_mul_lo_u32 v4, v8, s18
	v_mul_lo_u32 v11, v7, s19
	v_mad_u64_u32 v[9:10], s[0:1], v7, s18, 0
	s_load_dwordx2 s[0:1], s[6:7], 0x0
	s_add_u32 s16, s16, 1
	v_add3_u32 v4, v10, v11, v4
	v_sub_co_u32_e32 v5, vcc, v5, v9
	v_subb_co_u32_e32 v4, vcc, v6, v4, vcc
	s_waitcnt lgkmcnt(0)
	v_mul_lo_u32 v4, s0, v4
	v_mul_lo_u32 v6, s1, v5
	v_mad_u64_u32 v[1:2], s[0:1], s0, v5, v[1:2]
	s_addc_u32 s17, s17, 0
	s_add_u32 s6, s6, 8
	v_add3_u32 v2, v6, v2, v4
	v_mov_b32_e32 v4, s10
	v_mov_b32_e32 v5, s11
	s_addc_u32 s7, s7, 0
	v_cmp_ge_u64_e32 vcc, s[16:17], v[4:5]
	s_add_u32 s14, s14, 8
	s_addc_u32 s15, s15, 0
	s_cbranch_vccnz .LBB0_9
; %bb.7:                                ;   in Loop: Header=BB0_2 Depth=1
	v_mov_b32_e32 v5, v7
	v_mov_b32_e32 v6, v8
	s_branch .LBB0_2
.LBB0_8:
	v_mov_b32_e32 v8, v6
	v_mov_b32_e32 v7, v5
.LBB0_9:
	s_lshl_b64 s[0:1], s[10:11], 3
	s_add_u32 s0, s12, s0
	s_addc_u32 s1, s13, s1
	s_load_dwordx2 s[6:7], s[0:1], 0x0
	s_load_dwordx2 s[10:11], s[4:5], 0x20
	v_and_b32_e32 v35, 31, v0
	v_or_b32_e32 v36, 32, v35
	v_or_b32_e32 v32, 64, v35
	s_waitcnt lgkmcnt(0)
	v_mul_lo_u32 v3, s6, v8
	v_mul_lo_u32 v4, s7, v7
	v_mad_u64_u32 v[1:2], s[0:1], s6, v7, v[1:2]
	v_cmp_gt_u64_e32 vcc, s[10:11], v[7:8]
	v_cmp_le_u64_e64 s[0:1], s[10:11], v[7:8]
	v_add3_u32 v2, v4, v2, v3
                                        ; implicit-def: $sgpr6_sgpr7
                                        ; implicit-def: $vgpr37
                                        ; implicit-def: $vgpr33
                                        ; implicit-def: $vgpr31
                                        ; implicit-def: $vgpr30
	s_and_saveexec_b64 s[4:5], s[0:1]
	s_xor_b64 s[0:1], exec, s[4:5]
; %bb.10:
	v_or_b32_e32 v36, 32, v35
	v_or_b32_e32 v32, 64, v35
	;; [unrolled: 1-line block ×6, first 2 shown]
	s_mov_b64 s[6:7], 0
; %bb.11:
	s_or_saveexec_b64 s[4:5], s[0:1]
	v_mov_b32_e32 v23, s7
	v_lshlrev_b64 v[28:29], 3, v[1:2]
	v_mov_b32_e32 v22, s6
	v_lshlrev_b32_e32 v34, 3, v35
                                        ; implicit-def: $vgpr25
                                        ; implicit-def: $vgpr19
                                        ; implicit-def: $vgpr15
                                        ; implicit-def: $vgpr11
                                        ; implicit-def: $vgpr7
                                        ; implicit-def: $vgpr3
                                        ; implicit-def: $vgpr5
                                        ; implicit-def: $vgpr9
                                        ; implicit-def: $vgpr13
                                        ; implicit-def: $vgpr17
                                        ; implicit-def: $vgpr21
                                        ; implicit-def: $vgpr27
	s_xor_b64 exec, exec, s[4:5]
	s_cbranch_execz .LBB0_13
; %bb.12:
	v_mov_b32_e32 v1, s3
	v_add_co_u32_e64 v2, s[0:1], s2, v28
	v_addc_co_u32_e64 v1, s[0:1], v1, v29, s[0:1]
	v_add_co_u32_e64 v30, s[0:1], v2, v34
	v_addc_co_u32_e64 v31, s[0:1], 0, v1, s[0:1]
	global_load_dwordx2 v[22:23], v[30:31], off
	global_load_dwordx2 v[24:25], v[30:31], off offset:256
	global_load_dwordx2 v[18:19], v[30:31], off offset:512
	;; [unrolled: 1-line block ×12, first 2 shown]
	v_or_b32_e32 v37, 0x60, v35
	v_or_b32_e32 v33, 0x80, v35
	;; [unrolled: 1-line block ×4, first 2 shown]
.LBB0_13:
	s_or_b64 exec, exec, s[4:5]
	v_and_b32_e32 v0, 32, v0
	v_mov_b32_e32 v1, 0x1a0
	v_cmp_ne_u32_e64 s[0:1], 0, v0
	s_waitcnt vmcnt(11)
	v_add_f32_e32 v0, v24, v22
	v_cndmask_b32_e64 v38, 0, v1, s[0:1]
	v_add_f32_e32 v1, v25, v23
	s_waitcnt vmcnt(10)
	v_add_f32_e32 v0, v18, v0
	v_add_f32_e32 v1, v19, v1
	s_waitcnt vmcnt(9)
	v_add_f32_e32 v0, v14, v0
	;; [unrolled: 3-line block ×10, first 2 shown]
	s_waitcnt vmcnt(0)
	v_add_f32_e32 v40, v25, v27
	v_sub_f32_e32 v25, v25, v27
	v_add_f32_e32 v1, v21, v1
	v_add_f32_e32 v0, v26, v0
	v_add_f32_e32 v39, v24, v26
	v_sub_f32_e32 v24, v24, v26
	v_mul_f32_e32 v26, 0xbeedf032, v25
	v_mul_f32_e32 v43, 0xbf52af12, v25
	;; [unrolled: 1-line block ×6, first 2 shown]
	v_add_f32_e32 v1, v27, v1
	s_mov_b32 s6, 0x3f62ad3f
	v_mov_b32_e32 v27, v26
	s_mov_b32 s4, 0x3f116cb1
	v_mov_b32_e32 v44, v43
	;; [unrolled: 2-line block ×6, first 2 shown]
	v_fmac_f32_e32 v27, 0x3f62ad3f, v39
	v_mul_f32_e32 v41, 0xbeedf032, v24
	v_fma_f32 v26, v39, s6, -v26
	v_fmac_f32_e32 v44, 0x3f116cb1, v39
	v_mul_f32_e32 v45, 0xbf52af12, v24
	v_fma_f32 v43, v39, s4, -v43
	;; [unrolled: 3-line block ×6, first 2 shown]
	v_add_f32_e32 v27, v27, v22
	v_fma_f32 v42, v40, s6, -v41
	v_add_f32_e32 v26, v26, v22
	v_fmac_f32_e32 v41, 0x3f62ad3f, v40
	v_add_f32_e32 v44, v44, v22
	v_fma_f32 v46, v40, s4, -v45
	v_add_f32_e32 v43, v43, v22
	v_fmac_f32_e32 v45, 0x3f116cb1, v40
	;; [unrolled: 4-line block ×6, first 2 shown]
	v_add_f32_e32 v25, v19, v21
	v_sub_f32_e32 v19, v19, v21
	v_add_f32_e32 v42, v42, v23
	v_add_f32_e32 v41, v41, v23
	;; [unrolled: 1-line block ×13, first 2 shown]
	v_sub_f32_e32 v18, v18, v20
	v_mul_f32_e32 v20, 0xbf52af12, v19
	v_mov_b32_e32 v21, v20
	v_fmac_f32_e32 v21, 0x3f116cb1, v24
	v_add_f32_e32 v21, v21, v27
	v_mul_f32_e32 v27, 0xbf52af12, v18
	v_fma_f32 v39, v25, s4, -v27
	v_fma_f32 v20, v24, s4, -v20
	v_fmac_f32_e32 v27, 0x3f116cb1, v25
	v_add_f32_e32 v20, v20, v26
	v_add_f32_e32 v26, v27, v41
	v_mul_f32_e32 v27, 0xbf6f5d39, v19
	v_mov_b32_e32 v40, v27
	v_fma_f32 v27, v24, s1, -v27
	v_fmac_f32_e32 v40, 0xbeb58ec6, v24
	v_mul_f32_e32 v41, 0xbf6f5d39, v18
	v_add_f32_e32 v27, v27, v43
	v_mul_f32_e32 v43, 0xbe750f2a, v19
	v_add_f32_e32 v39, v39, v42
	v_add_f32_e32 v40, v40, v44
	v_fma_f32 v42, v25, s1, -v41
	v_fmac_f32_e32 v41, 0xbeb58ec6, v25
	v_mov_b32_e32 v44, v43
	v_fma_f32 v43, v24, s7, -v43
	v_add_f32_e32 v41, v41, v45
	v_fmac_f32_e32 v44, 0xbf788fa5, v24
	v_mul_f32_e32 v45, 0xbe750f2a, v18
	v_add_f32_e32 v43, v43, v47
	v_mul_f32_e32 v47, 0x3f29c268, v19
	v_add_f32_e32 v42, v42, v46
	v_add_f32_e32 v44, v44, v48
	v_fma_f32 v46, v25, s7, -v45
	v_fmac_f32_e32 v45, 0xbf788fa5, v25
	v_mov_b32_e32 v48, v47
	v_fma_f32 v47, v24, s5, -v47
	v_add_f32_e32 v45, v45, v49
	v_fmac_f32_e32 v48, 0xbf3f9e67, v24
	v_mul_f32_e32 v49, 0x3f29c268, v18
	v_add_f32_e32 v47, v47, v51
	v_mul_f32_e32 v51, 0x3f7e222b, v19
	v_add_f32_e32 v46, v46, v50
	v_add_f32_e32 v48, v48, v52
	v_fma_f32 v50, v25, s5, -v49
	v_fmac_f32_e32 v49, 0xbf3f9e67, v25
	v_mov_b32_e32 v52, v51
	v_add_f32_e32 v49, v49, v53
	v_fmac_f32_e32 v52, 0x3df6dbef, v24
	v_mul_f32_e32 v53, 0x3f7e222b, v18
	v_mul_f32_e32 v18, 0x3eedf032, v18
	v_add_f32_e32 v52, v52, v56
	v_fma_f32 v51, v24, s0, -v51
	v_mul_f32_e32 v19, 0x3eedf032, v19
	v_fma_f32 v56, v25, s6, -v18
	v_fmac_f32_e32 v18, 0x3f62ad3f, v25
	v_add_f32_e32 v51, v51, v55
	v_mov_b32_e32 v55, v19
	v_fma_f32 v19, v24, s6, -v19
	v_add_f32_e32 v18, v18, v23
	v_add_f32_e32 v23, v15, v17
	v_sub_f32_e32 v15, v15, v17
	v_add_f32_e32 v19, v19, v22
	v_add_f32_e32 v22, v14, v16
	v_sub_f32_e32 v14, v14, v16
	v_mul_f32_e32 v16, 0xbf7e222b, v15
	v_mov_b32_e32 v17, v16
	v_fmac_f32_e32 v17, 0x3df6dbef, v22
	v_add_f32_e32 v17, v17, v21
	v_mul_f32_e32 v21, 0xbf7e222b, v14
	v_fmac_f32_e32 v55, 0x3f62ad3f, v24
	v_fma_f32 v24, v23, s0, -v21
	v_fma_f32 v16, v22, s0, -v16
	v_fmac_f32_e32 v21, 0x3df6dbef, v23
	v_add_f32_e32 v16, v16, v20
	v_add_f32_e32 v20, v21, v26
	v_mul_f32_e32 v21, 0xbe750f2a, v15
	v_add_f32_e32 v50, v50, v54
	v_fma_f32 v54, v25, s0, -v53
	v_fmac_f32_e32 v53, 0x3df6dbef, v25
	v_mov_b32_e32 v25, v21
	v_fma_f32 v21, v22, s7, -v21
	v_fmac_f32_e32 v25, 0xbf788fa5, v22
	v_mul_f32_e32 v26, 0xbe750f2a, v14
	v_add_f32_e32 v21, v21, v27
	v_mul_f32_e32 v27, 0x3f6f5d39, v15
	v_add_f32_e32 v24, v24, v39
	v_add_f32_e32 v25, v25, v40
	v_fma_f32 v39, v23, s7, -v26
	v_fmac_f32_e32 v26, 0xbf788fa5, v23
	v_mov_b32_e32 v40, v27
	v_fma_f32 v27, v22, s1, -v27
	v_add_f32_e32 v26, v26, v41
	v_fmac_f32_e32 v40, 0xbeb58ec6, v22
	v_mul_f32_e32 v41, 0x3f6f5d39, v14
	v_add_f32_e32 v27, v27, v43
	v_mul_f32_e32 v43, 0x3eedf032, v15
	v_add_f32_e32 v39, v39, v42
	v_add_f32_e32 v40, v40, v44
	v_fma_f32 v42, v23, s1, -v41
	v_fmac_f32_e32 v41, 0xbeb58ec6, v23
	v_mov_b32_e32 v44, v43
	v_fma_f32 v43, v22, s6, -v43
	v_add_f32_e32 v41, v41, v45
	v_fmac_f32_e32 v44, 0x3f62ad3f, v22
	v_mul_f32_e32 v45, 0x3eedf032, v14
	v_add_f32_e32 v43, v43, v47
	v_mul_f32_e32 v47, 0xbf52af12, v15
	v_add_f32_e32 v42, v42, v46
	v_add_f32_e32 v44, v44, v48
	v_fma_f32 v46, v23, s6, -v45
	v_fmac_f32_e32 v45, 0x3f62ad3f, v23
	v_mov_b32_e32 v48, v47
	v_fma_f32 v47, v22, s4, -v47
	v_mul_f32_e32 v15, 0xbf29c268, v15
	v_add_f32_e32 v45, v45, v49
	v_fmac_f32_e32 v48, 0x3f116cb1, v22
	v_mul_f32_e32 v49, 0xbf52af12, v14
	v_add_f32_e32 v47, v47, v51
	v_mov_b32_e32 v51, v15
	v_mul_f32_e32 v14, 0xbf29c268, v14
	v_fma_f32 v15, v22, s5, -v15
	v_add_f32_e32 v48, v48, v52
	v_fma_f32 v52, v23, s5, -v14
	v_add_f32_e32 v15, v15, v19
	v_fmac_f32_e32 v14, 0xbf3f9e67, v23
	v_add_f32_e32 v19, v11, v13
	v_sub_f32_e32 v11, v11, v13
	v_add_f32_e32 v14, v14, v18
	v_add_f32_e32 v18, v10, v12
	v_sub_f32_e32 v10, v10, v12
	v_mul_f32_e32 v12, 0xbf6f5d39, v11
	v_mov_b32_e32 v13, v12
	v_fmac_f32_e32 v13, 0xbeb58ec6, v18
	v_add_f32_e32 v13, v13, v17
	v_mul_f32_e32 v17, 0xbf6f5d39, v10
	v_fmac_f32_e32 v51, 0xbf3f9e67, v22
	v_fma_f32 v22, v19, s1, -v17
	v_fma_f32 v12, v18, s1, -v12
	v_fmac_f32_e32 v17, 0xbeb58ec6, v19
	v_add_f32_e32 v46, v46, v50
	v_fma_f32 v50, v23, s4, -v49
	v_fmac_f32_e32 v49, 0x3f116cb1, v23
	v_add_f32_e32 v12, v12, v16
	v_add_f32_e32 v16, v17, v20
	v_mul_f32_e32 v17, 0x3f29c268, v11
	v_mul_f32_e32 v23, 0x3f29c268, v10
	v_add_f32_e32 v22, v22, v24
	v_mov_b32_e32 v20, v17
	v_fma_f32 v24, v19, s5, -v23
	v_fma_f32 v17, v18, s5, -v17
	v_fmac_f32_e32 v23, 0xbf3f9e67, v19
	v_fmac_f32_e32 v20, 0xbf3f9e67, v18
	v_add_f32_e32 v17, v17, v21
	v_add_f32_e32 v21, v23, v26
	v_mul_f32_e32 v23, 0x3eedf032, v11
	v_add_f32_e32 v20, v20, v25
	v_mov_b32_e32 v25, v23
	v_mul_f32_e32 v26, 0x3eedf032, v10
	v_add_f32_e32 v24, v24, v39
	v_fmac_f32_e32 v25, 0x3f62ad3f, v18
	v_fma_f32 v39, v19, s6, -v26
	v_fmac_f32_e32 v26, 0x3f62ad3f, v19
	v_add_f32_e32 v25, v25, v40
	v_fma_f32 v23, v18, s6, -v23
	v_add_f32_e32 v40, v26, v41
	v_mul_f32_e32 v26, 0xbf7e222b, v11
	v_add_f32_e32 v23, v23, v27
	v_mov_b32_e32 v27, v26
	v_fmac_f32_e32 v27, 0x3df6dbef, v18
	v_add_f32_e32 v41, v27, v44
	v_mul_f32_e32 v27, 0xbf7e222b, v10
	v_fma_f32 v26, v18, s0, -v26
	v_add_f32_e32 v39, v39, v42
	v_fma_f32 v42, v19, s0, -v27
	v_add_f32_e32 v43, v26, v43
	v_fmac_f32_e32 v27, 0x3df6dbef, v19
	v_mul_f32_e32 v26, 0x3e750f2a, v11
	v_add_f32_e32 v44, v27, v45
	v_mov_b32_e32 v27, v26
	v_fmac_f32_e32 v27, 0xbf788fa5, v18
	v_fma_f32 v26, v18, s7, -v26
	v_mul_f32_e32 v11, 0x3f52af12, v11
	v_add_f32_e32 v53, v53, v57
	v_add_f32_e32 v55, v55, v59
	;; [unrolled: 1-line block ×3, first 2 shown]
	v_mul_f32_e32 v27, 0x3e750f2a, v10
	v_add_f32_e32 v47, v26, v47
	v_mov_b32_e32 v26, v11
	v_add_f32_e32 v54, v54, v58
	v_add_f32_e32 v56, v56, v60
	;; [unrolled: 1-line block ×5, first 2 shown]
	v_fma_f32 v46, v19, s7, -v27
	v_fmac_f32_e32 v27, 0xbf788fa5, v19
	v_fmac_f32_e32 v26, 0x3f116cb1, v18
	v_mul_f32_e32 v10, 0x3f52af12, v10
	v_add_f32_e32 v50, v50, v54
	v_add_f32_e32 v52, v52, v56
	;; [unrolled: 1-line block ×4, first 2 shown]
	v_fma_f32 v26, v19, s4, -v10
	v_add_f32_e32 v46, v46, v50
	v_add_f32_e32 v50, v26, v52
	;; [unrolled: 1-line block ×3, first 2 shown]
	v_sub_f32_e32 v7, v7, v9
	v_add_f32_e32 v51, v6, v8
	v_sub_f32_e32 v6, v6, v8
	v_mul_f32_e32 v8, 0xbf29c268, v7
	v_mov_b32_e32 v9, v8
	v_fmac_f32_e32 v9, 0xbf3f9e67, v51
	v_fmac_f32_e32 v10, 0x3f116cb1, v19
	v_add_f32_e32 v53, v9, v13
	v_mul_f32_e32 v9, 0xbf29c268, v6
	v_fma_f32 v8, v51, s5, -v8
	v_add_f32_e32 v14, v10, v14
	v_fma_f32 v10, v52, s5, -v9
	v_add_f32_e32 v55, v8, v12
	v_fmac_f32_e32 v9, 0xbf3f9e67, v52
	v_mul_f32_e32 v8, 0x3f7e222b, v7
	v_add_f32_e32 v56, v9, v16
	v_mov_b32_e32 v9, v8
	v_fmac_f32_e32 v9, 0x3df6dbef, v51
	v_add_f32_e32 v57, v9, v20
	v_mul_f32_e32 v9, 0x3f7e222b, v6
	v_fma_f32 v8, v51, s0, -v8
	v_add_f32_e32 v54, v10, v22
	v_fma_f32 v10, v52, s0, -v9
	v_add_f32_e32 v27, v8, v17
	v_fmac_f32_e32 v9, 0x3df6dbef, v52
	v_mul_f32_e32 v8, 0xbf52af12, v7
	v_add_f32_e32 v26, v9, v21
	v_mov_b32_e32 v9, v8
	v_fmac_f32_e32 v9, 0x3f116cb1, v51
	v_add_f32_e32 v58, v10, v24
	v_add_f32_e32 v24, v9, v25
	v_mul_f32_e32 v9, 0xbf52af12, v6
	v_fma_f32 v8, v51, s4, -v8
	v_fma_f32 v10, v52, s4, -v9
	v_add_f32_e32 v23, v8, v23
	v_fmac_f32_e32 v9, 0x3f116cb1, v52
	v_mul_f32_e32 v8, 0x3e750f2a, v7
	v_add_f32_e32 v22, v9, v40
	v_mov_b32_e32 v9, v8
	v_fmac_f32_e32 v9, 0xbf788fa5, v51
	v_add_f32_e32 v20, v9, v41
	v_mul_f32_e32 v9, 0x3e750f2a, v6
	v_add_f32_e32 v25, v10, v39
	v_fma_f32 v10, v52, s7, -v9
	v_add_f32_e32 v17, v2, v4
	v_sub_f32_e32 v4, v2, v4
	v_add_f32_e32 v21, v10, v42
	v_add_f32_e32 v16, v3, v5
	v_sub_f32_e32 v5, v3, v5
	v_mul_f32_e32 v42, 0x3eedf032, v4
	v_mul_f32_e32 v41, 0x3eedf032, v5
	v_fma_f32 v40, v16, s6, -v42
	v_fmac_f32_e32 v42, 0x3f62ad3f, v16
	v_mov_b32_e32 v39, v41
	v_fma_f32 v41, v17, s6, -v41
	v_add_f32_e32 v42, v42, v26
	v_mul_f32_e32 v26, 0xbf29c268, v5
	v_add_f32_e32 v41, v41, v27
	v_mov_b32_e32 v27, v26
	v_fmac_f32_e32 v27, 0xbf3f9e67, v17
	v_fma_f32 v8, v51, s7, -v8
	v_add_f32_e32 v24, v27, v24
	v_mul_f32_e32 v27, 0xbf29c268, v4
	v_add_f32_e32 v19, v8, v43
	v_fma_f32 v43, v16, s5, -v27
	v_fmac_f32_e32 v27, 0xbf3f9e67, v16
	v_fma_f32 v26, v17, s5, -v26
	v_add_f32_e32 v27, v27, v22
	v_mul_f32_e32 v22, 0x3f52af12, v5
	v_add_f32_e32 v26, v26, v23
	v_mov_b32_e32 v23, v22
	v_fmac_f32_e32 v23, 0x3f116cb1, v17
	v_fmac_f32_e32 v9, 0xbf788fa5, v52
	v_mul_f32_e32 v8, 0x3eedf032, v7
	v_add_f32_e32 v20, v23, v20
	v_mul_f32_e32 v23, 0x3f52af12, v4
	v_fma_f32 v11, v18, s4, -v11
	v_add_f32_e32 v18, v9, v44
	v_mov_b32_e32 v9, v8
	v_add_f32_e32 v25, v43, v25
	v_fma_f32 v43, v16, s4, -v23
	v_fmac_f32_e32 v23, 0x3f116cb1, v16
	v_fmac_f32_e32 v9, 0x3f62ad3f, v51
	v_fma_f32 v22, v17, s4, -v22
	v_add_f32_e32 v23, v23, v18
	v_mul_f32_e32 v18, 0xbf6f5d39, v5
	v_add_f32_e32 v12, v9, v45
	v_mul_f32_e32 v9, 0x3eedf032, v6
	v_add_f32_e32 v22, v22, v19
	v_mov_b32_e32 v19, v18
	v_fma_f32 v10, v52, s6, -v9
	v_fmac_f32_e32 v9, 0x3f62ad3f, v52
	v_mul_f32_e32 v6, 0xbf6f5d39, v6
	v_fmac_f32_e32 v19, 0xbeb58ec6, v17
	v_add_f32_e32 v13, v10, v46
	v_fma_f32 v8, v51, s6, -v8
	v_add_f32_e32 v10, v9, v48
	v_mul_f32_e32 v7, 0xbf6f5d39, v7
	v_fma_f32 v9, v52, s1, -v6
	v_fmac_f32_e32 v6, 0xbeb58ec6, v52
	v_add_f32_e32 v12, v19, v12
	v_mul_f32_e32 v19, 0xbf6f5d39, v4
	v_add_f32_e32 v15, v11, v15
	v_add_f32_e32 v11, v8, v47
	v_mov_b32_e32 v8, v7
	v_add_f32_e32 v6, v6, v14
	v_mul_f32_e32 v14, 0xbe750f2a, v5
	v_add_f32_e32 v21, v43, v21
	v_fma_f32 v43, v16, s1, -v19
	v_fmac_f32_e32 v19, 0xbeb58ec6, v16
	v_mul_f32_e32 v5, 0x3f7e222b, v5
	v_fmac_f32_e32 v8, 0xbeb58ec6, v51
	v_add_f32_e32 v19, v19, v10
	v_mov_b32_e32 v10, v5
	v_add_f32_e32 v8, v8, v49
	v_fmac_f32_e32 v10, 0x3df6dbef, v17
	v_fma_f32 v7, v51, s1, -v7
	v_add_f32_e32 v8, v10, v8
	v_mul_f32_e32 v10, 0x3f7e222b, v4
	v_add_f32_e32 v9, v9, v50
	v_add_f32_e32 v7, v7, v15
	v_mov_b32_e32 v2, v14
	v_mul_f32_e32 v15, 0xbe750f2a, v4
	v_fma_f32 v4, v16, s0, -v10
	v_fmac_f32_e32 v2, 0xbf788fa5, v17
	v_fma_f32 v3, v16, s7, -v15
	v_fmac_f32_e32 v39, 0x3f62ad3f, v17
	v_add_f32_e32 v13, v43, v13
	v_add_f32_e32 v9, v4, v9
	v_fma_f32 v4, v17, s0, -v5
	v_fmac_f32_e32 v10, 0x3df6dbef, v16
	v_lshl_add_u32 v43, v38, 3, 0
	s_movk_i32 s0, 0x68
	v_add_f32_e32 v2, v2, v53
	v_add_f32_e32 v3, v3, v54
	v_fma_f32 v14, v17, s7, -v14
	v_fmac_f32_e32 v15, 0xbf788fa5, v16
	v_add_f32_e32 v39, v39, v57
	v_fma_f32 v18, v17, s1, -v18
	v_add_f32_e32 v5, v10, v6
	v_mad_u32_u24 v6, v35, s0, v43
	s_movk_i32 s0, 0xffa0
	v_add_f32_e32 v14, v14, v55
	v_add_f32_e32 v15, v15, v56
	;; [unrolled: 1-line block ×5, first 2 shown]
	ds_write2_b64 v6, v[0:1], v[2:3] offset1:1
	ds_write2_b64 v6, v[39:40], v[24:25] offset0:2 offset1:3
	ds_write2_b64 v6, v[20:21], v[12:13] offset0:4 offset1:5
	;; [unrolled: 1-line block ×5, first 2 shown]
	ds_write_b64 v6, v[14:15] offset:96
	v_mad_i32_i24 v39, v35, s0, v6
	v_lshl_add_u32 v40, v35, 3, v43
	v_add_u32_e32 v2, 0x800, v39
	s_waitcnt lgkmcnt(0)
	; wave barrier
	s_waitcnt lgkmcnt(0)
	ds_read2_b64 v[8:11], v39 offset0:208 offset1:240
	v_lshl_add_u32 v0, v36, 3, v43
	v_lshl_add_u32 v1, v32, 3, v43
	ds_read2_b64 v[4:7], v2 offset0:16 offset1:48
	v_lshl_add_u32 v3, v37, 3, v43
	ds_read_b64 v[24:25], v40
	ds_read_b64 v[20:21], v0
	;; [unrolled: 1-line block ×4, first 2 shown]
	v_lshl_add_u32 v12, v33, 3, v43
	v_lshl_add_u32 v18, v31, 3, v43
	ds_read2_b64 v[0:3], v2 offset0:80 offset1:112
	ds_read_b64 v[12:13], v12
	ds_read_b64 v[18:19], v18
	v_cmp_gt_u32_e64 s[0:1], 16, v35
	v_lshlrev_b32_e32 v38, 3, v38
                                        ; implicit-def: $vgpr27
	s_and_saveexec_b64 s[4:5], s[0:1]
	s_cbranch_execz .LBB0_15
; %bb.14:
	v_lshlrev_b32_e32 v14, 3, v30
	v_add3_u32 v14, 0, v14, v38
	ds_read_b64 v[14:15], v14
	ds_read_b64 v[26:27], v39 offset:3200
.LBB0_15:
	s_or_b64 exec, exec, s[4:5]
	v_mul_lo_u16_e32 v41, 20, v35
	v_lshrrev_b16_e32 v43, 8, v41
	v_mul_lo_u16_e32 v41, 13, v43
	v_sub_u16_e32 v41, v35, v41
	v_mov_b32_e32 v44, 3
	v_lshlrev_b32_sdwa v45, v44, v41 dst_sel:DWORD dst_unused:UNUSED_PAD src0_sel:DWORD src1_sel:BYTE_0
	global_load_dwordx2 v[41:42], v45, s[8:9]
	s_movk_i32 s4, 0x4f
	s_movk_i32 s6, 0xd0
	s_waitcnt vmcnt(0) lgkmcnt(8)
	v_mul_f32_e32 v46, v42, v9
	v_fmac_f32_e32 v46, v41, v8
	v_mul_f32_e32 v8, v42, v8
	v_fma_f32 v41, v41, v9, -v8
	v_mul_lo_u16_sdwa v8, v36, s4 dst_sel:DWORD dst_unused:UNUSED_PAD src0_sel:BYTE_0 src1_sel:DWORD
	v_lshrrev_b16_e32 v42, 10, v8
	v_mul_lo_u16_e32 v8, 13, v42
	v_sub_u16_e32 v8, v36, v8
	v_lshlrev_b32_sdwa v36, v44, v8 dst_sel:DWORD dst_unused:UNUSED_PAD src0_sel:DWORD src1_sel:BYTE_0
	global_load_dwordx2 v[8:9], v36, s[8:9]
	s_waitcnt vmcnt(0)
	v_mul_f32_e32 v47, v9, v11
	v_mul_f32_e32 v9, v9, v10
	v_fmac_f32_e32 v47, v8, v10
	v_fma_f32 v10, v8, v11, -v9
	v_mul_lo_u16_sdwa v8, v32, s4 dst_sel:DWORD dst_unused:UNUSED_PAD src0_sel:BYTE_0 src1_sel:DWORD
	v_lshrrev_b16_e32 v48, 10, v8
	v_mul_lo_u16_e32 v8, 13, v48
	v_sub_u16_e32 v8, v32, v8
	v_lshlrev_b32_sdwa v49, v44, v8 dst_sel:DWORD dst_unused:UNUSED_PAD src0_sel:DWORD src1_sel:BYTE_0
	global_load_dwordx2 v[8:9], v49, s[8:9]
	s_waitcnt vmcnt(0) lgkmcnt(7)
	v_mul_f32_e32 v50, v9, v5
	v_fmac_f32_e32 v50, v8, v4
	v_mul_f32_e32 v4, v9, v4
	v_fma_f32 v51, v8, v5, -v4
	v_mul_lo_u16_sdwa v4, v37, s4 dst_sel:DWORD dst_unused:UNUSED_PAD src0_sel:BYTE_0 src1_sel:DWORD
	v_lshrrev_b16_e32 v52, 10, v4
	v_mul_lo_u16_e32 v4, 13, v52
	v_sub_u16_e32 v4, v37, v4
	v_lshlrev_b32_sdwa v37, v44, v4 dst_sel:DWORD dst_unused:UNUSED_PAD src0_sel:DWORD src1_sel:BYTE_0
	global_load_dwordx2 v[4:5], v37, s[8:9]
	s_waitcnt lgkmcnt(6)
	v_sub_f32_e32 v9, v25, v41
	v_sub_f32_e32 v8, v24, v46
	s_waitcnt vmcnt(0)
	v_mul_f32_e32 v53, v5, v7
	v_mul_f32_e32 v5, v5, v6
	v_fmac_f32_e32 v53, v4, v6
	v_fma_f32 v54, v4, v7, -v5
	v_mul_lo_u16_sdwa v4, v33, s4 dst_sel:DWORD dst_unused:UNUSED_PAD src0_sel:BYTE_0 src1_sel:DWORD
	v_lshrrev_b16_e32 v55, 10, v4
	v_mul_lo_u16_e32 v4, 13, v55
	v_sub_u16_e32 v4, v33, v4
	v_lshlrev_b32_sdwa v56, v44, v4 dst_sel:DWORD dst_unused:UNUSED_PAD src0_sel:DWORD src1_sel:BYTE_0
	global_load_dwordx2 v[4:5], v56, s[8:9]
	s_waitcnt vmcnt(0) lgkmcnt(2)
	v_mul_f32_e32 v57, v5, v1
	v_fmac_f32_e32 v57, v4, v0
	v_mul_f32_e32 v0, v5, v0
	v_fma_f32 v58, v4, v1, -v0
	v_mul_lo_u16_sdwa v0, v31, s4 dst_sel:DWORD dst_unused:UNUSED_PAD src0_sel:BYTE_0 src1_sel:DWORD
	v_lshrrev_b16_e32 v59, 10, v0
	v_mul_lo_u16_e32 v0, 13, v59
	v_sub_u16_e32 v0, v31, v0
	v_lshlrev_b32_sdwa v60, v44, v0 dst_sel:DWORD dst_unused:UNUSED_PAD src0_sel:DWORD src1_sel:BYTE_0
	global_load_dwordx2 v[0:1], v60, s[8:9]
	v_fma_f32 v31, v25, 2.0, -v9
	v_sub_f32_e32 v4, v20, v47
	v_sub_f32_e32 v5, v21, v10
	v_fma_f32 v10, v20, 2.0, -v4
	v_fma_f32 v11, v21, 2.0, -v5
	v_sub_f32_e32 v20, v22, v50
	v_sub_f32_e32 v21, v23, v51
	v_fma_f32 v6, v22, 2.0, -v20
	v_fma_f32 v7, v23, 2.0, -v21
	s_waitcnt vmcnt(0)
	v_mul_f32_e32 v61, v1, v3
	v_mul_f32_e32 v1, v1, v2
	v_fmac_f32_e32 v61, v0, v2
	v_fma_f32 v62, v0, v3, -v1
	v_mul_lo_u16_sdwa v0, v30, s4 dst_sel:DWORD dst_unused:UNUSED_PAD src0_sel:BYTE_0 src1_sel:DWORD
	v_lshrrev_b16_e32 v32, 10, v0
	v_mul_lo_u16_e32 v0, 13, v32
	v_sub_u16_e32 v0, v30, v0
	v_lshlrev_b32_sdwa v33, v44, v0 dst_sel:DWORD dst_unused:UNUSED_PAD src0_sel:DWORD src1_sel:BYTE_0
	global_load_dwordx2 v[0:1], v33, s[8:9]
	v_fma_f32 v30, v24, 2.0, -v8
	s_waitcnt lgkmcnt(0)
	; wave barrier
	s_waitcnt vmcnt(0) lgkmcnt(0)
	v_mul_f32_e32 v44, v27, v1
	v_mul_f32_e32 v1, v26, v1
	v_fmac_f32_e32 v44, v26, v0
	v_fma_f32 v26, v27, v0, -v1
	v_sub_f32_e32 v25, v15, v26
	v_mad_u32_u24 v26, v43, s6, 0
	v_add3_u32 v26, v26, v45, v38
	ds_write2_b64 v26, v[30:31], v[8:9] offset1:13
	v_mad_u32_u24 v26, v42, s6, 0
	v_add3_u32 v26, v26, v36, v38
	ds_write2_b64 v26, v[10:11], v[4:5] offset1:13
	v_mad_u32_u24 v26, v48, s6, 0
	v_add3_u32 v26, v26, v49, v38
	v_sub_f32_e32 v0, v16, v53
	v_sub_f32_e32 v1, v17, v54
	ds_write2_b64 v26, v[6:7], v[20:21] offset1:13
	v_mad_u32_u24 v26, v52, s6, 0
	v_fma_f32 v22, v16, 2.0, -v0
	v_fma_f32 v23, v17, 2.0, -v1
	v_add3_u32 v26, v26, v37, v38
	v_sub_f32_e32 v16, v12, v57
	v_sub_f32_e32 v17, v13, v58
	ds_write2_b64 v26, v[22:23], v[0:1] offset1:13
	v_mad_u32_u24 v26, v55, s6, 0
	v_fma_f32 v2, v12, 2.0, -v16
	v_fma_f32 v3, v13, 2.0, -v17
	v_add3_u32 v26, v26, v56, v38
	v_sub_f32_e32 v12, v18, v61
	v_sub_f32_e32 v13, v19, v62
	;; [unrolled: 1-line block ×3, first 2 shown]
	ds_write2_b64 v26, v[2:3], v[16:17] offset1:13
	v_mad_u32_u24 v26, v59, s6, 0
	v_fma_f32 v18, v18, 2.0, -v12
	v_fma_f32 v19, v19, 2.0, -v13
	;; [unrolled: 1-line block ×4, first 2 shown]
	v_add3_u32 v26, v26, v60, v38
	ds_write2_b64 v26, v[18:19], v[12:13] offset1:13
	s_and_saveexec_b64 s[4:5], s[0:1]
	s_cbranch_execz .LBB0_17
; %bb.16:
	v_mad_u32_u24 v26, v32, s6, 0
	v_add3_u32 v26, v26, v33, v38
	ds_write2_b64 v26, v[14:15], v[24:25] offset1:13
.LBB0_17:
	s_or_b64 exec, exec, s[4:5]
	v_cmp_gt_u32_e64 s[0:1], 26, v35
	s_waitcnt lgkmcnt(0)
	; wave barrier
	s_waitcnt lgkmcnt(0)
                                        ; implicit-def: $vgpr33
	s_and_saveexec_b64 s[4:5], s[0:1]
	s_cbranch_execnz .LBB0_20
; %bb.18:
	s_or_b64 exec, exec, s[4:5]
	s_and_b64 s[0:1], vcc, s[0:1]
	s_and_saveexec_b64 s[4:5], s[0:1]
	s_cbranch_execnz .LBB0_21
.LBB0_19:
	s_endpgm
.LBB0_20:
	v_add_u32_e32 v12, 0x400, v39
	v_add_u32_e32 v24, 0x800, v39
	ds_read2_b64 v[8:11], v39 offset0:26 offset1:52
	ds_read2_b64 v[4:7], v39 offset0:78 offset1:104
	ds_read2_b64 v[20:23], v39 offset0:130 offset1:156
	ds_read2_b64 v[0:3], v39 offset0:182 offset1:208
	ds_read2_b64 v[16:19], v12 offset0:106 offset1:132
	ds_read2_b64 v[12:15], v24 offset0:30 offset1:56
	ds_read2_b64 v[24:27], v24 offset0:82 offset1:108
	ds_read_b64 v[30:31], v40
	ds_read_b64 v[32:33], v39 offset:3120
	s_or_b64 exec, exec, s[4:5]
	s_and_b64 s[0:1], vcc, s[0:1]
	s_and_saveexec_b64 s[4:5], s[0:1]
	s_cbranch_execz .LBB0_19
.LBB0_21:
	v_mul_u32_u24_e32 v35, 15, v35
	v_lshlrev_b32_e32 v55, 3, v35
	global_load_dwordx4 v[35:38], v55, s[8:9] offset:136
	global_load_dwordx4 v[39:42], v55, s[8:9] offset:104
	;; [unrolled: 1-line block ×5, first 2 shown]
	s_waitcnt vmcnt(4) lgkmcnt(6)
	v_mul_f32_e32 v56, v23, v38
	v_mul_f32_e32 v38, v22, v38
	v_mul_f32_e32 v57, v21, v36
	v_mul_f32_e32 v36, v20, v36
	v_fmac_f32_e32 v56, v22, v37
	v_fma_f32 v37, v23, v37, -v38
	v_fmac_f32_e32 v57, v20, v35
	v_fma_f32 v38, v21, v35, -v36
	s_waitcnt vmcnt(3)
	v_mul_f32_e32 v20, v10, v42
	s_waitcnt vmcnt(2) lgkmcnt(2)
	v_mul_f32_e32 v58, v27, v46
	v_mul_f32_e32 v21, v26, v46
	;; [unrolled: 1-line block ×4, first 2 shown]
	v_fmac_f32_e32 v58, v26, v45
	v_fma_f32 v26, v27, v45, -v21
	v_fmac_f32_e32 v46, v24, v43
	v_fma_f32 v24, v25, v43, -v22
	v_mul_f32_e32 v25, v8, v40
	v_mul_f32_e32 v27, v9, v40
	v_fma_f32 v40, v11, v41, -v20
	global_load_dwordx4 v[20:23], v55, s[8:9] offset:168
	global_load_dwordx2 v[35:36], v55, s[8:9] offset:216
	v_mul_f32_e32 v42, v11, v42
	v_fmac_f32_e32 v42, v10, v41
	v_fma_f32 v25, v9, v39, -v25
	v_fmac_f32_e32 v27, v8, v39
	global_load_dwordx4 v[8:11], v55, s[8:9] offset:184
	s_waitcnt vmcnt(4)
	v_mul_f32_e32 v41, v2, v50
	s_waitcnt vmcnt(3)
	v_mul_f32_e32 v43, v7, v54
	v_fmac_f32_e32 v43, v6, v53
	v_sub_f32_e32 v24, v38, v24
	s_waitcnt vmcnt(2)
	v_mul_f32_e32 v39, v18, v23
	v_mul_f32_e32 v23, v19, v23
	;; [unrolled: 1-line block ×4, first 2 shown]
	v_fma_f32 v19, v19, v22, -v39
	v_fmac_f32_e32 v23, v18, v22
	v_fma_f32 v17, v17, v20, -v45
	v_fmac_f32_e32 v21, v16, v20
	v_mul_f32_e32 v20, v1, v48
	s_waitcnt vmcnt(1) lgkmcnt(0)
	v_mul_f32_e32 v22, v33, v36
	v_mul_f32_e32 v36, v32, v36
	s_waitcnt vmcnt(0)
	v_mul_f32_e32 v44, v15, v11
	v_mul_f32_e32 v16, v4, v52
	v_mul_f32_e32 v18, v12, v9
	v_mul_f32_e32 v39, v0, v48
	v_fmac_f32_e32 v22, v32, v35
	v_fma_f32 v32, v33, v35, -v36
	v_mul_f32_e32 v33, v6, v54
	v_fmac_f32_e32 v20, v0, v47
	v_mul_f32_e32 v0, v14, v11
	v_mul_f32_e32 v45, v5, v52
	;; [unrolled: 1-line block ×3, first 2 shown]
	v_fma_f32 v35, v3, v49, -v41
	v_fmac_f32_e32 v44, v14, v10
	v_fma_f32 v5, v5, v51, -v16
	v_fma_f32 v6, v13, v8, -v18
	;; [unrolled: 1-line block ×5, first 2 shown]
	v_fmac_f32_e32 v9, v12, v8
	v_sub_f32_e32 v12, v40, v19
	v_sub_f32_e32 v16, v31, v35
	;; [unrolled: 1-line block ×7, first 2 shown]
	v_mul_f32_e32 v0, v3, v50
	v_fmac_f32_e32 v45, v4, v51
	v_sub_f32_e32 v8, v56, v58
	v_sub_f32_e32 v6, v20, v22
	;; [unrolled: 1-line block ×6, first 2 shown]
	v_fmac_f32_e32 v0, v2, v49
	v_fma_f32 v53, v5, 2.0, -v26
	v_fma_f32 v5, v13, 2.0, -v32
	v_sub_f32_e32 v23, v42, v23
	v_sub_f32_e32 v9, v45, v9
	;; [unrolled: 1-line block ×4, first 2 shown]
	v_mov_b32_e32 v46, v35
	v_sub_f32_e32 v2, v30, v0
	v_sub_f32_e32 v13, v53, v5
	v_fma_f32 v27, v27, 2.0, -v21
	v_fma_f32 v5, v57, 2.0, -v22
	v_add_f32_e32 v36, v23, v19
	v_sub_f32_e32 v39, v26, v6
	v_add_f32_e32 v44, v9, v32
	v_mov_b32_e32 v47, v41
	v_fmac_f32_e32 v46, 0x3f3504f3, v33
	v_add_f32_e32 v48, v21, v24
	v_add_f32_e32 v49, v2, v10
	v_sub_f32_e32 v32, v27, v5
	v_fma_f32 v22, v40, 2.0, -v12
	v_fma_f32 v5, v37, 2.0, -v19
	v_fmac_f32_e32 v47, 0x3f3504f3, v39
	v_fmac_f32_e32 v46, 0xbf3504f3, v36
	v_mov_b32_e32 v51, v48
	v_mov_b32_e32 v50, v49
	v_fma_f32 v14, v31, 2.0, -v16
	v_fma_f32 v7, v7, 2.0, -v10
	v_sub_f32_e32 v19, v22, v5
	v_fma_f32 v30, v30, 2.0, -v2
	v_fma_f32 v5, v43, 2.0, -v18
	v_fmac_f32_e32 v47, 0xbf3504f3, v44
	v_fmac_f32_e32 v51, 0x3f3504f3, v44
	;; [unrolled: 1-line block ×3, first 2 shown]
	v_sub_f32_e32 v31, v14, v7
	v_fma_f32 v25, v25, 2.0, -v17
	v_sub_f32_e32 v37, v30, v5
	v_fma_f32 v43, v16, 2.0, -v35
	v_fma_f32 v16, v23, 2.0, -v36
	;; [unrolled: 1-line block ×4, first 2 shown]
	v_fmac_f32_e32 v51, 0x3f3504f3, v39
	v_fma_f32 v15, v42, 2.0, -v23
	v_fma_f32 v7, v56, 2.0, -v8
	v_add_f32_e32 v40, v19, v37
	v_fma_f32 v56, v14, 2.0, -v31
	v_fma_f32 v14, v22, 2.0, -v19
	;; [unrolled: 1-line block ×3, first 2 shown]
	v_mov_b32_e32 v18, v17
	v_fmac_f32_e32 v50, 0x3f3504f3, v33
	v_sub_f32_e32 v42, v15, v7
	v_fma_f32 v7, v38, 2.0, -v24
	v_fma_f32 v38, v45, 2.0, -v9
	;; [unrolled: 1-line block ×6, first 2 shown]
	v_fmac_f32_e32 v18, 0xbec3ef15, v19
	v_fma_f32 v21, v48, 2.0, -v51
	v_sub_f32_e32 v24, v25, v7
	v_sub_f32_e32 v20, v38, v6
	v_fmac_f32_e32 v18, 0xbf6c835e, v21
	v_fma_f32 v22, v49, 2.0, -v50
	v_sub_f32_e32 v45, v24, v20
	v_sub_f32_e32 v57, v56, v14
	v_fma_f32 v14, v38, 2.0, -v20
	v_fma_f32 v20, v17, 2.0, -v18
	v_mov_b32_e32 v17, v22
	v_sub_f32_e32 v52, v31, v42
	v_fmac_f32_e32 v17, 0xbec3ef15, v21
	v_fmac_f32_e32 v17, 0x3f6c835e, v19
	v_fma_f32 v21, v31, 2.0, -v52
	v_add_f32_e32 v54, v13, v32
	v_fma_f32 v2, v2, 2.0, -v49
	v_fma_f32 v19, v22, 2.0, -v17
	;; [unrolled: 1-line block ×3, first 2 shown]
	v_mov_b32_e32 v22, v21
	v_mov_b32_e32 v55, v2
	v_fma_f32 v59, v25, 2.0, -v24
	v_fmac_f32_e32 v22, 0xbf3504f3, v23
	v_fma_f32 v25, v32, 2.0, -v54
	v_mov_b32_e32 v33, v43
	v_mov_b32_e32 v26, v36
	v_fma_f32 v9, v9, 2.0, -v44
	v_mov_b32_e32 v44, v39
	v_fmac_f32_e32 v55, 0xbf3504f3, v16
	v_fma_f32 v58, v30, 2.0, -v37
	v_fmac_f32_e32 v22, 0xbf3504f3, v25
	v_fma_f32 v30, v37, 2.0, -v40
	v_fmac_f32_e32 v33, 0xbf3504f3, v11
	v_fmac_f32_e32 v26, 0xbf3504f3, v12
	;; [unrolled: 1-line block ×4, first 2 shown]
	v_fma_f32 v24, v21, 2.0, -v22
	v_mov_b32_e32 v21, v30
	v_fmac_f32_e32 v33, 0xbf3504f3, v16
	v_fmac_f32_e32 v26, 0xbf3504f3, v9
	;; [unrolled: 1-line block ×3, first 2 shown]
	v_mov_b32_e32 v9, v55
	v_fmac_f32_e32 v21, 0xbf3504f3, v25
	v_mov_b32_e32 v10, v33
	v_fmac_f32_e32 v9, 0x3ec3ef15, v44
	v_fmac_f32_e32 v21, 0x3f3504f3, v23
	v_fma_f32 v25, v43, 2.0, -v33
	v_fmac_f32_e32 v10, 0x3ec3ef15, v26
	v_fmac_f32_e32 v9, 0x3f6c835e, v26
	v_fma_f32 v23, v30, 2.0, -v21
	v_fma_f32 v30, v36, 2.0, -v26
	v_mov_b32_e32 v26, v25
	v_fma_f32 v27, v27, 2.0, -v32
	v_fmac_f32_e32 v26, 0xbf6c835e, v30
	v_fma_f32 v32, v39, 2.0, -v44
	v_fmac_f32_e32 v26, 0xbec3ef15, v32
	v_fma_f32 v2, v2, 2.0, -v55
	v_fma_f32 v31, v25, 2.0, -v26
	v_mov_b32_e32 v25, v2
	v_fma_f32 v13, v53, 2.0, -v13
	v_fmac_f32_e32 v25, 0xbf6c835e, v32
	v_sub_f32_e32 v53, v59, v13
	v_fmac_f32_e32 v25, 0x3ec3ef15, v30
	v_fmac_f32_e32 v10, 0xbf6c835e, v44
	v_fma_f32 v15, v15, 2.0, -v42
	v_fma_f32 v30, v2, 2.0, -v25
	;; [unrolled: 1-line block ×5, first 2 shown]
	v_sub_f32_e32 v38, v27, v14
	v_sub_f32_e32 v42, v58, v15
	;; [unrolled: 1-line block ×3, first 2 shown]
	v_fma_f32 v36, v2, 2.0, -v33
	v_fma_f32 v2, v58, 2.0, -v42
	;; [unrolled: 1-line block ×3, first 2 shown]
	v_sub_f32_e32 v32, v2, v27
	v_fma_f32 v35, v2, 2.0, -v32
	v_mov_b32_e32 v2, s3
	v_add_co_u32_e32 v27, vcc, s2, v28
	v_mov_b32_e32 v1, v46
	v_mov_b32_e32 v0, v50
	v_mov_b32_e32 v6, v52
	v_mov_b32_e32 v5, v40
	v_addc_co_u32_e32 v2, vcc, v2, v29, vcc
	v_fmac_f32_e32 v1, 0x3f6c835e, v47
	v_fmac_f32_e32 v0, 0x3f6c835e, v51
	;; [unrolled: 1-line block ×4, first 2 shown]
	v_add_co_u32_e32 v27, vcc, v27, v34
	v_fmac_f32_e32 v1, 0xbec3ef15, v51
	v_fmac_f32_e32 v0, 0x3ec3ef15, v47
	;; [unrolled: 1-line block ×4, first 2 shown]
	v_sub_f32_e32 v14, v57, v38
	v_add_f32_e32 v13, v42, v53
	v_addc_co_u32_e32 v28, vcc, 0, v2, vcc
	v_fma_f32 v4, v46, 2.0, -v1
	v_fma_f32 v3, v50, 2.0, -v0
	;; [unrolled: 1-line block ×7, first 2 shown]
	global_store_dwordx2 v[27:28], v[35:36], off
	global_store_dwordx2 v[27:28], v[30:31], off offset:208
	global_store_dwordx2 v[27:28], v[23:24], off offset:416
	;; [unrolled: 1-line block ×15, first 2 shown]
	s_endpgm
	.section	.rodata,"a",@progbits
	.p2align	6, 0x0
	.amdhsa_kernel fft_rtc_back_len416_factors_13_2_16_wgs_64_tpt_32_sp_ip_CI_unitstride_sbrr_dirReg
		.amdhsa_group_segment_fixed_size 0
		.amdhsa_private_segment_fixed_size 0
		.amdhsa_kernarg_size 88
		.amdhsa_user_sgpr_count 6
		.amdhsa_user_sgpr_private_segment_buffer 1
		.amdhsa_user_sgpr_dispatch_ptr 0
		.amdhsa_user_sgpr_queue_ptr 0
		.amdhsa_user_sgpr_kernarg_segment_ptr 1
		.amdhsa_user_sgpr_dispatch_id 0
		.amdhsa_user_sgpr_flat_scratch_init 0
		.amdhsa_user_sgpr_private_segment_size 0
		.amdhsa_uses_dynamic_stack 0
		.amdhsa_system_sgpr_private_segment_wavefront_offset 0
		.amdhsa_system_sgpr_workgroup_id_x 1
		.amdhsa_system_sgpr_workgroup_id_y 0
		.amdhsa_system_sgpr_workgroup_id_z 0
		.amdhsa_system_sgpr_workgroup_info 0
		.amdhsa_system_vgpr_workitem_id 0
		.amdhsa_next_free_vgpr 63
		.amdhsa_next_free_sgpr 22
		.amdhsa_reserve_vcc 1
		.amdhsa_reserve_flat_scratch 0
		.amdhsa_float_round_mode_32 0
		.amdhsa_float_round_mode_16_64 0
		.amdhsa_float_denorm_mode_32 3
		.amdhsa_float_denorm_mode_16_64 3
		.amdhsa_dx10_clamp 1
		.amdhsa_ieee_mode 1
		.amdhsa_fp16_overflow 0
		.amdhsa_exception_fp_ieee_invalid_op 0
		.amdhsa_exception_fp_denorm_src 0
		.amdhsa_exception_fp_ieee_div_zero 0
		.amdhsa_exception_fp_ieee_overflow 0
		.amdhsa_exception_fp_ieee_underflow 0
		.amdhsa_exception_fp_ieee_inexact 0
		.amdhsa_exception_int_div_zero 0
	.end_amdhsa_kernel
	.text
.Lfunc_end0:
	.size	fft_rtc_back_len416_factors_13_2_16_wgs_64_tpt_32_sp_ip_CI_unitstride_sbrr_dirReg, .Lfunc_end0-fft_rtc_back_len416_factors_13_2_16_wgs_64_tpt_32_sp_ip_CI_unitstride_sbrr_dirReg
                                        ; -- End function
	.section	.AMDGPU.csdata,"",@progbits
; Kernel info:
; codeLenInByte = 6972
; NumSgprs: 26
; NumVgprs: 63
; ScratchSize: 0
; MemoryBound: 0
; FloatMode: 240
; IeeeMode: 1
; LDSByteSize: 0 bytes/workgroup (compile time only)
; SGPRBlocks: 3
; VGPRBlocks: 15
; NumSGPRsForWavesPerEU: 26
; NumVGPRsForWavesPerEU: 63
; Occupancy: 4
; WaveLimiterHint : 1
; COMPUTE_PGM_RSRC2:SCRATCH_EN: 0
; COMPUTE_PGM_RSRC2:USER_SGPR: 6
; COMPUTE_PGM_RSRC2:TRAP_HANDLER: 0
; COMPUTE_PGM_RSRC2:TGID_X_EN: 1
; COMPUTE_PGM_RSRC2:TGID_Y_EN: 0
; COMPUTE_PGM_RSRC2:TGID_Z_EN: 0
; COMPUTE_PGM_RSRC2:TIDIG_COMP_CNT: 0
	.type	__hip_cuid_a064763ff82eec51,@object ; @__hip_cuid_a064763ff82eec51
	.section	.bss,"aw",@nobits
	.globl	__hip_cuid_a064763ff82eec51
__hip_cuid_a064763ff82eec51:
	.byte	0                               ; 0x0
	.size	__hip_cuid_a064763ff82eec51, 1

	.ident	"AMD clang version 19.0.0git (https://github.com/RadeonOpenCompute/llvm-project roc-6.4.0 25133 c7fe45cf4b819c5991fe208aaa96edf142730f1d)"
	.section	".note.GNU-stack","",@progbits
	.addrsig
	.addrsig_sym __hip_cuid_a064763ff82eec51
	.amdgpu_metadata
---
amdhsa.kernels:
  - .args:
      - .actual_access:  read_only
        .address_space:  global
        .offset:         0
        .size:           8
        .value_kind:     global_buffer
      - .offset:         8
        .size:           8
        .value_kind:     by_value
      - .actual_access:  read_only
        .address_space:  global
        .offset:         16
        .size:           8
        .value_kind:     global_buffer
      - .actual_access:  read_only
        .address_space:  global
        .offset:         24
        .size:           8
        .value_kind:     global_buffer
      - .offset:         32
        .size:           8
        .value_kind:     by_value
      - .actual_access:  read_only
        .address_space:  global
        .offset:         40
        .size:           8
        .value_kind:     global_buffer
      - .actual_access:  read_only
        .address_space:  global
        .offset:         48
        .size:           8
        .value_kind:     global_buffer
      - .offset:         56
        .size:           4
        .value_kind:     by_value
      - .actual_access:  read_only
        .address_space:  global
        .offset:         64
        .size:           8
        .value_kind:     global_buffer
      - .actual_access:  read_only
        .address_space:  global
        .offset:         72
        .size:           8
        .value_kind:     global_buffer
      - .address_space:  global
        .offset:         80
        .size:           8
        .value_kind:     global_buffer
    .group_segment_fixed_size: 0
    .kernarg_segment_align: 8
    .kernarg_segment_size: 88
    .language:       OpenCL C
    .language_version:
      - 2
      - 0
    .max_flat_workgroup_size: 64
    .name:           fft_rtc_back_len416_factors_13_2_16_wgs_64_tpt_32_sp_ip_CI_unitstride_sbrr_dirReg
    .private_segment_fixed_size: 0
    .sgpr_count:     26
    .sgpr_spill_count: 0
    .symbol:         fft_rtc_back_len416_factors_13_2_16_wgs_64_tpt_32_sp_ip_CI_unitstride_sbrr_dirReg.kd
    .uniform_work_group_size: 1
    .uses_dynamic_stack: false
    .vgpr_count:     63
    .vgpr_spill_count: 0
    .wavefront_size: 64
amdhsa.target:   amdgcn-amd-amdhsa--gfx906
amdhsa.version:
  - 1
  - 2
...

	.end_amdgpu_metadata
